;; amdgpu-corpus repo=ROCm/rocFFT kind=compiled arch=gfx950 opt=O3
	.text
	.amdgcn_target "amdgcn-amd-amdhsa--gfx950"
	.amdhsa_code_object_version 6
	.protected	fft_rtc_fwd_len640_factors_8_10_8_wgs_128_tpt_64_halfLds_dp_ip_CI_sbrr_dirReg ; -- Begin function fft_rtc_fwd_len640_factors_8_10_8_wgs_128_tpt_64_halfLds_dp_ip_CI_sbrr_dirReg
	.globl	fft_rtc_fwd_len640_factors_8_10_8_wgs_128_tpt_64_halfLds_dp_ip_CI_sbrr_dirReg
	.p2align	8
	.type	fft_rtc_fwd_len640_factors_8_10_8_wgs_128_tpt_64_halfLds_dp_ip_CI_sbrr_dirReg,@function
fft_rtc_fwd_len640_factors_8_10_8_wgs_128_tpt_64_halfLds_dp_ip_CI_sbrr_dirReg: ; @fft_rtc_fwd_len640_factors_8_10_8_wgs_128_tpt_64_halfLds_dp_ip_CI_sbrr_dirReg
; %bb.0:
	s_load_dwordx2 s[12:13], s[0:1], 0x18
	s_load_dwordx4 s[4:7], s[0:1], 0x0
	s_load_dwordx2 s[10:11], s[0:1], 0x50
	v_lshrrev_b32_e32 v1, 6, v0
	v_lshl_or_b32 v6, s2, 1, v1
	s_waitcnt lgkmcnt(0)
	s_load_dwordx2 s[8:9], s[12:13], 0x0
	v_mov_b32_e32 v4, 0
	v_cmp_lt_u64_e64 s[2:3], s[6:7], 2
	v_mov_b32_e32 v7, v4
	s_and_b64 vcc, exec, s[2:3]
	v_mov_b64_e32 v[2:3], 0
	s_cbranch_vccnz .LBB0_8
; %bb.1:
	s_load_dwordx2 s[2:3], s[0:1], 0x10
	s_add_u32 s14, s12, 8
	s_addc_u32 s15, s13, 0
	s_mov_b64 s[16:17], 1
	v_mov_b64_e32 v[2:3], 0
	s_waitcnt lgkmcnt(0)
	s_add_u32 s18, s2, 8
	s_addc_u32 s19, s3, 0
.LBB0_2:                                ; =>This Inner Loop Header: Depth=1
	s_load_dwordx2 s[20:21], s[18:19], 0x0
                                        ; implicit-def: $vgpr8_vgpr9
	s_waitcnt lgkmcnt(0)
	v_or_b32_e32 v5, s21, v7
	v_cmp_ne_u64_e32 vcc, 0, v[4:5]
	s_and_saveexec_b64 s[2:3], vcc
	s_xor_b64 s[22:23], exec, s[2:3]
	s_cbranch_execz .LBB0_4
; %bb.3:                                ;   in Loop: Header=BB0_2 Depth=1
	v_cvt_f32_u32_e32 v1, s20
	v_cvt_f32_u32_e32 v5, s21
	s_sub_u32 s2, 0, s20
	s_subb_u32 s3, 0, s21
	v_fmac_f32_e32 v1, 0x4f800000, v5
	v_rcp_f32_e32 v1, v1
	s_nop 0
	v_mul_f32_e32 v1, 0x5f7ffffc, v1
	v_mul_f32_e32 v5, 0x2f800000, v1
	v_trunc_f32_e32 v5, v5
	v_fmac_f32_e32 v1, 0xcf800000, v5
	v_cvt_u32_f32_e32 v5, v5
	v_cvt_u32_f32_e32 v1, v1
	v_mul_lo_u32 v8, s2, v5
	v_mul_hi_u32 v10, s2, v1
	v_mul_lo_u32 v9, s3, v1
	v_add_u32_e32 v10, v10, v8
	v_mul_lo_u32 v12, s2, v1
	v_add_u32_e32 v13, v10, v9
	v_mul_hi_u32 v8, v1, v12
	v_mul_hi_u32 v11, v1, v13
	v_mul_lo_u32 v10, v1, v13
	v_mov_b32_e32 v9, v4
	v_lshl_add_u64 v[8:9], v[8:9], 0, v[10:11]
	v_mul_hi_u32 v11, v5, v12
	v_mul_lo_u32 v12, v5, v12
	v_add_co_u32_e32 v8, vcc, v8, v12
	v_mul_hi_u32 v10, v5, v13
	s_nop 0
	v_addc_co_u32_e32 v8, vcc, v9, v11, vcc
	v_mov_b32_e32 v9, v4
	s_nop 0
	v_addc_co_u32_e32 v11, vcc, 0, v10, vcc
	v_mul_lo_u32 v10, v5, v13
	v_lshl_add_u64 v[8:9], v[8:9], 0, v[10:11]
	v_add_co_u32_e32 v1, vcc, v1, v8
	v_mul_lo_u32 v10, s2, v1
	s_nop 0
	v_addc_co_u32_e32 v5, vcc, v5, v9, vcc
	v_mul_lo_u32 v8, s2, v5
	v_mul_hi_u32 v9, s2, v1
	v_add_u32_e32 v8, v9, v8
	v_mul_lo_u32 v9, s3, v1
	v_add_u32_e32 v12, v8, v9
	v_mul_hi_u32 v14, v5, v10
	v_mul_lo_u32 v15, v5, v10
	v_mul_hi_u32 v9, v1, v12
	v_mul_lo_u32 v8, v1, v12
	v_mul_hi_u32 v10, v1, v10
	v_mov_b32_e32 v11, v4
	v_lshl_add_u64 v[8:9], v[10:11], 0, v[8:9]
	v_add_co_u32_e32 v8, vcc, v8, v15
	v_mul_hi_u32 v13, v5, v12
	s_nop 0
	v_addc_co_u32_e32 v8, vcc, v9, v14, vcc
	v_mul_lo_u32 v10, v5, v12
	s_nop 0
	v_addc_co_u32_e32 v11, vcc, 0, v13, vcc
	v_mov_b32_e32 v9, v4
	v_lshl_add_u64 v[8:9], v[8:9], 0, v[10:11]
	v_add_co_u32_e32 v1, vcc, v1, v8
	v_mul_hi_u32 v10, v6, v1
	s_nop 0
	v_addc_co_u32_e32 v5, vcc, v5, v9, vcc
	v_mad_u64_u32 v[8:9], s[2:3], v6, v5, 0
	v_mov_b32_e32 v11, v4
	v_lshl_add_u64 v[8:9], v[10:11], 0, v[8:9]
	v_mad_u64_u32 v[12:13], s[2:3], v7, v1, 0
	v_add_co_u32_e32 v1, vcc, v8, v12
	v_mad_u64_u32 v[10:11], s[2:3], v7, v5, 0
	s_nop 0
	v_addc_co_u32_e32 v8, vcc, v9, v13, vcc
	v_mov_b32_e32 v9, v4
	s_nop 0
	v_addc_co_u32_e32 v11, vcc, 0, v11, vcc
	v_lshl_add_u64 v[8:9], v[8:9], 0, v[10:11]
	v_mul_lo_u32 v1, s21, v8
	v_mul_lo_u32 v5, s20, v9
	v_mad_u64_u32 v[10:11], s[2:3], s20, v8, 0
	v_add3_u32 v1, v11, v5, v1
	v_sub_u32_e32 v5, v7, v1
	v_mov_b32_e32 v11, s21
	v_sub_co_u32_e32 v14, vcc, v6, v10
	v_lshl_add_u64 v[12:13], v[8:9], 0, 1
	s_nop 0
	v_subb_co_u32_e64 v5, s[2:3], v5, v11, vcc
	v_subrev_co_u32_e64 v10, s[2:3], s20, v14
	v_subb_co_u32_e32 v1, vcc, v7, v1, vcc
	s_nop 0
	v_subbrev_co_u32_e64 v5, s[2:3], 0, v5, s[2:3]
	v_cmp_le_u32_e64 s[2:3], s21, v5
	v_cmp_le_u32_e32 vcc, s21, v1
	s_nop 0
	v_cndmask_b32_e64 v11, 0, -1, s[2:3]
	v_cmp_le_u32_e64 s[2:3], s20, v10
	s_nop 1
	v_cndmask_b32_e64 v10, 0, -1, s[2:3]
	v_cmp_eq_u32_e64 s[2:3], s21, v5
	s_nop 1
	v_cndmask_b32_e64 v5, v11, v10, s[2:3]
	v_lshl_add_u64 v[10:11], v[8:9], 0, 2
	v_cmp_ne_u32_e64 s[2:3], 0, v5
	s_nop 1
	v_cndmask_b32_e64 v5, v13, v11, s[2:3]
	v_cndmask_b32_e64 v11, 0, -1, vcc
	v_cmp_le_u32_e32 vcc, s20, v14
	s_nop 1
	v_cndmask_b32_e64 v13, 0, -1, vcc
	v_cmp_eq_u32_e32 vcc, s21, v1
	s_nop 1
	v_cndmask_b32_e32 v1, v11, v13, vcc
	v_cmp_ne_u32_e32 vcc, 0, v1
	v_cndmask_b32_e64 v1, v12, v10, s[2:3]
	s_nop 0
	v_cndmask_b32_e32 v9, v9, v5, vcc
	v_cndmask_b32_e32 v8, v8, v1, vcc
.LBB0_4:                                ;   in Loop: Header=BB0_2 Depth=1
	s_andn2_saveexec_b64 s[2:3], s[22:23]
	s_cbranch_execz .LBB0_6
; %bb.5:                                ;   in Loop: Header=BB0_2 Depth=1
	v_cvt_f32_u32_e32 v1, s20
	s_sub_i32 s22, 0, s20
	v_rcp_iflag_f32_e32 v1, v1
	s_nop 0
	v_mul_f32_e32 v1, 0x4f7ffffe, v1
	v_cvt_u32_f32_e32 v1, v1
	v_mul_lo_u32 v5, s22, v1
	v_mul_hi_u32 v5, v1, v5
	v_add_u32_e32 v1, v1, v5
	v_mul_hi_u32 v1, v6, v1
	v_mul_lo_u32 v5, v1, s20
	v_sub_u32_e32 v5, v6, v5
	v_add_u32_e32 v8, 1, v1
	v_subrev_u32_e32 v9, s20, v5
	v_cmp_le_u32_e32 vcc, s20, v5
	s_nop 1
	v_cndmask_b32_e32 v5, v5, v9, vcc
	v_cndmask_b32_e32 v1, v1, v8, vcc
	v_add_u32_e32 v8, 1, v1
	v_cmp_le_u32_e32 vcc, s20, v5
	v_mov_b32_e32 v9, v4
	s_nop 0
	v_cndmask_b32_e32 v8, v1, v8, vcc
.LBB0_6:                                ;   in Loop: Header=BB0_2 Depth=1
	s_or_b64 exec, exec, s[2:3]
	v_mad_u64_u32 v[10:11], s[2:3], v8, s20, 0
	s_load_dwordx2 s[2:3], s[14:15], 0x0
	v_mul_lo_u32 v1, v9, s20
	v_mul_lo_u32 v5, v8, s21
	v_add3_u32 v1, v11, v5, v1
	v_sub_co_u32_e32 v5, vcc, v6, v10
	s_add_u32 s16, s16, 1
	s_nop 0
	v_subb_co_u32_e32 v1, vcc, v7, v1, vcc
	s_addc_u32 s17, s17, 0
	s_waitcnt lgkmcnt(0)
	v_mul_lo_u32 v1, s2, v1
	v_mul_lo_u32 v6, s3, v5
	v_mad_u64_u32 v[2:3], s[2:3], s2, v5, v[2:3]
	s_add_u32 s14, s14, 8
	v_add3_u32 v3, v6, v3, v1
	s_addc_u32 s15, s15, 0
	v_mov_b64_e32 v[6:7], s[6:7]
	s_add_u32 s18, s18, 8
	v_cmp_ge_u64_e32 vcc, s[16:17], v[6:7]
	s_addc_u32 s19, s19, 0
	s_cbranch_vccnz .LBB0_9
; %bb.7:                                ;   in Loop: Header=BB0_2 Depth=1
	v_mov_b64_e32 v[6:7], v[8:9]
	s_branch .LBB0_2
.LBB0_8:
	v_mov_b64_e32 v[8:9], v[6:7]
.LBB0_9:
	s_lshl_b64 s[2:3], s[6:7], 3
	s_add_u32 s2, s12, s2
	s_addc_u32 s3, s13, s3
	s_load_dwordx2 s[6:7], s[2:3], 0x0
	s_load_dwordx2 s[12:13], s[0:1], 0x20
	v_and_b32_e32 v92, 63, v0
	v_or_b32_e32 v93, 64, v92
                                        ; implicit-def: $vgpr94
	s_waitcnt lgkmcnt(0)
	v_mul_lo_u32 v1, s6, v9
	v_mul_lo_u32 v4, s7, v8
	v_mad_u64_u32 v[2:3], s[0:1], s6, v8, v[2:3]
	v_add3_u32 v3, v4, v3, v1
	v_cmp_gt_u64_e32 vcc, s[12:13], v[8:9]
	v_cmp_le_u64_e64 s[0:1], s[12:13], v[8:9]
	s_and_saveexec_b64 s[2:3], s[0:1]
	s_xor_b64 s[0:1], exec, s[2:3]
; %bb.10:
	v_or_b32_e32 v94, 64, v92
; %bb.11:
	s_or_saveexec_b64 s[2:3], s[0:1]
	v_lshl_add_u64 v[68:69], v[2:3], 4, s[10:11]
                                        ; implicit-def: $vgpr8_vgpr9
                                        ; implicit-def: $vgpr38_vgpr39
                                        ; implicit-def: $vgpr22_vgpr23
                                        ; implicit-def: $vgpr54_vgpr55
                                        ; implicit-def: $vgpr4_vgpr5
                                        ; implicit-def: $vgpr42_vgpr43
                                        ; implicit-def: $vgpr34_vgpr35
                                        ; implicit-def: $vgpr66_vgpr67
                                        ; implicit-def: $vgpr62_vgpr63
                                        ; implicit-def: $vgpr50_vgpr51
                                        ; implicit-def: $vgpr30_vgpr31
                                        ; implicit-def: $vgpr26_vgpr27
                                        ; implicit-def: $vgpr58_vgpr59
                                        ; implicit-def: $vgpr46_vgpr47
                                        ; implicit-def: $vgpr18_vgpr19
                                        ; implicit-def: $vgpr14_vgpr15
	s_xor_b64 exec, exec, s[2:3]
	s_cbranch_execz .LBB0_15
; %bb.12:
	v_mad_u64_u32 v[2:3], s[0:1], s8, v92, 0
	v_mov_b32_e32 v4, v3
	v_mad_u64_u32 v[4:5], s[0:1], s9, v92, v[4:5]
	v_add_u32_e32 v1, 0x50, v92
	v_mov_b32_e32 v3, v4
	v_mad_u64_u32 v[4:5], s[0:1], s8, v1, 0
	v_mov_b32_e32 v6, v5
	v_mad_u64_u32 v[6:7], s[0:1], s9, v1, v[6:7]
	v_lshl_add_u64 v[2:3], v[2:3], 4, v[68:69]
	v_mov_b32_e32 v5, v6
	v_add_u32_e32 v1, 0xa0, v92
	v_lshl_add_u64 v[4:5], v[4:5], 4, v[68:69]
	global_load_dwordx4 v[12:15], v[2:3], off
	global_load_dwordx4 v[6:9], v[4:5], off
	v_mad_u64_u32 v[2:3], s[0:1], s8, v1, 0
	v_mov_b32_e32 v4, v3
	v_mad_u64_u32 v[4:5], s[0:1], s9, v1, v[4:5]
	v_add_u32_e32 v1, 0xf0, v92
	v_mov_b32_e32 v3, v4
	v_mad_u64_u32 v[4:5], s[0:1], s8, v1, 0
	v_mov_b32_e32 v10, v5
	v_mad_u64_u32 v[10:11], s[0:1], s9, v1, v[10:11]
	v_lshl_add_u64 v[2:3], v[2:3], 4, v[68:69]
	v_mov_b32_e32 v5, v10
	v_or_b32_e32 v1, 0x140, v92
	v_lshl_add_u64 v[4:5], v[4:5], 4, v[68:69]
	global_load_dwordx4 v[16:19], v[2:3], off
	global_load_dwordx4 v[36:39], v[4:5], off
	v_mad_u64_u32 v[2:3], s[0:1], s8, v1, 0
	v_mov_b32_e32 v4, v3
	v_mad_u64_u32 v[4:5], s[0:1], s9, v1, v[4:5]
	v_add_u32_e32 v1, 0x190, v92
	v_mov_b32_e32 v3, v4
	v_mad_u64_u32 v[4:5], s[0:1], s8, v1, 0
	v_mov_b32_e32 v10, v5
	v_mad_u64_u32 v[10:11], s[0:1], s9, v1, v[10:11]
	v_lshl_add_u64 v[2:3], v[2:3], 4, v[68:69]
	v_mov_b32_e32 v5, v10
	v_add_u32_e32 v1, 0x1e0, v92
	v_lshl_add_u64 v[4:5], v[4:5], 4, v[68:69]
	global_load_dwordx4 v[20:23], v[2:3], off
	global_load_dwordx4 v[44:47], v[4:5], off
	v_mad_u64_u32 v[2:3], s[0:1], s8, v1, 0
	v_mov_b32_e32 v4, v3
	v_mad_u64_u32 v[4:5], s[0:1], s9, v1, v[4:5]
	v_add_u32_e32 v1, 0x230, v92
	v_mov_b32_e32 v3, v4
	v_mad_u64_u32 v[4:5], s[0:1], s8, v1, 0
	v_mov_b32_e32 v10, v5
	v_mad_u64_u32 v[10:11], s[0:1], s9, v1, v[10:11]
	v_lshl_add_u64 v[2:3], v[2:3], 4, v[68:69]
	v_mov_b32_e32 v5, v10
	v_lshl_add_u64 v[4:5], v[4:5], 4, v[68:69]
	global_load_dwordx4 v[52:55], v[2:3], off
	global_load_dwordx4 v[56:59], v[4:5], off
	s_movk_i32 s0, 0x50
	v_cmp_gt_u32_e64 s[0:1], s0, v93
                                        ; implicit-def: $vgpr24_vgpr25
                                        ; implicit-def: $vgpr28_vgpr29
                                        ; implicit-def: $vgpr48_vgpr49
                                        ; implicit-def: $vgpr60_vgpr61
                                        ; implicit-def: $vgpr64_vgpr65
                                        ; implicit-def: $vgpr32_vgpr33
                                        ; implicit-def: $vgpr40_vgpr41
                                        ; implicit-def: $vgpr2_vgpr3
	s_and_saveexec_b64 s[6:7], s[0:1]
	s_cbranch_execz .LBB0_14
; %bb.13:
	v_mad_u64_u32 v[2:3], s[0:1], s8, v93, 0
	v_mov_b32_e32 v4, v3
	v_mad_u64_u32 v[4:5], s[0:1], s9, v93, v[4:5]
	v_mov_b32_e32 v3, v4
	v_add_u32_e32 v1, 0x90, v92
	v_lshl_add_u64 v[10:11], v[2:3], 4, v[68:69]
	v_mad_u64_u32 v[2:3], s[0:1], s8, v1, 0
	v_mov_b32_e32 v4, v3
	v_mad_u64_u32 v[4:5], s[0:1], s9, v1, v[4:5]
	v_mov_b32_e32 v3, v4
	v_add_u32_e32 v1, 0xe0, v92
	v_lshl_add_u64 v[28:29], v[2:3], 4, v[68:69]
	global_load_dwordx4 v[24:27], v[10:11], off
	global_load_dwordx4 v[2:5], v[28:29], off
	v_mad_u64_u32 v[10:11], s[0:1], s8, v1, 0
	v_mov_b32_e32 v28, v11
	v_mad_u64_u32 v[28:29], s[0:1], s9, v1, v[28:29]
	v_add_u32_e32 v1, 0x130, v92
	v_mov_b32_e32 v11, v28
	v_mad_u64_u32 v[28:29], s[0:1], s8, v1, 0
	v_mov_b32_e32 v30, v29
	v_mad_u64_u32 v[30:31], s[0:1], s9, v1, v[30:31]
	v_lshl_add_u64 v[10:11], v[10:11], 4, v[68:69]
	v_mov_b32_e32 v29, v30
	v_or_b32_e32 v1, 0x180, v92
	v_lshl_add_u64 v[32:33], v[28:29], 4, v[68:69]
	global_load_dwordx4 v[28:31], v[10:11], off
	global_load_dwordx4 v[40:43], v[32:33], off
	v_mad_u64_u32 v[10:11], s[0:1], s8, v1, 0
	v_mov_b32_e32 v32, v11
	v_mad_u64_u32 v[32:33], s[0:1], s9, v1, v[32:33]
	v_add_u32_e32 v1, 0x1d0, v92
	v_mov_b32_e32 v11, v32
	v_mad_u64_u32 v[32:33], s[0:1], s8, v1, 0
	v_mov_b32_e32 v34, v33
	v_mad_u64_u32 v[34:35], s[0:1], s9, v1, v[34:35]
	v_lshl_add_u64 v[10:11], v[10:11], 4, v[68:69]
	v_mov_b32_e32 v33, v34
	v_add_u32_e32 v1, 0x220, v92
	v_lshl_add_u64 v[60:61], v[32:33], 4, v[68:69]
	global_load_dwordx4 v[32:35], v[10:11], off
	global_load_dwordx4 v[48:51], v[60:61], off
	v_mad_u64_u32 v[10:11], s[0:1], s8, v1, 0
	v_mov_b32_e32 v60, v11
	v_mad_u64_u32 v[60:61], s[0:1], s9, v1, v[60:61]
	v_add_u32_e32 v1, 0x270, v92
	v_mov_b32_e32 v11, v60
	v_mad_u64_u32 v[60:61], s[0:1], s8, v1, 0
	v_mov_b32_e32 v62, v61
	v_mad_u64_u32 v[62:63], s[0:1], s9, v1, v[62:63]
	v_lshl_add_u64 v[10:11], v[10:11], 4, v[68:69]
	v_mov_b32_e32 v61, v62
	v_lshl_add_u64 v[70:71], v[60:61], 4, v[68:69]
	global_load_dwordx4 v[64:67], v[10:11], off
	global_load_dwordx4 v[60:63], v[70:71], off
.LBB0_14:
	s_or_b64 exec, exec, s[6:7]
	v_mov_b32_e32 v94, v93
.LBB0_15:
	s_or_b64 exec, exec, s[2:3]
	s_waitcnt vmcnt(2)
	v_add_f64 v[46:47], v[8:9], -v[46:47]
	s_waitcnt vmcnt(1)
	v_add_f64 v[52:53], v[16:17], -v[52:53]
	v_add_f64 v[54:55], v[18:19], -v[54:55]
	;; [unrolled: 1-line block ×3, first 2 shown]
	v_fma_f64 v[44:45], v[8:9], 2.0, -v[46:47]
	s_waitcnt vmcnt(0)
	v_add_f64 v[8:9], v[36:37], -v[56:57]
	v_add_f64 v[56:57], v[38:39], -v[58:59]
	;; [unrolled: 1-line block ×3, first 2 shown]
	v_fma_f64 v[6:7], v[6:7], 2.0, -v[10:11]
	v_fma_f64 v[36:37], v[36:37], 2.0, -v[8:9]
	;; [unrolled: 1-line block ×5, first 2 shown]
	v_add_f64 v[72:73], v[20:21], -v[54:55]
	v_add_f64 v[56:57], v[10:11], -v[56:57]
	s_mov_b32 s2, 0x667f3bcd
	v_add_f64 v[58:59], v[12:13], -v[16:17]
	v_fma_f64 v[20:21], v[20:21], 2.0, -v[72:73]
	v_add_f64 v[16:17], v[6:7], -v[36:37]
	v_add_f64 v[74:75], v[8:9], v[46:47]
	v_fma_f64 v[76:77], v[10:11], 2.0, -v[56:57]
	s_mov_b32 s3, 0x3fe6a09e
	s_mov_b32 s7, 0xbfe6a09e
	;; [unrolled: 1-line block ×3, first 2 shown]
	v_fma_f64 v[12:13], v[12:13], 2.0, -v[58:59]
	v_fma_f64 v[6:7], v[6:7], 2.0, -v[16:17]
	;; [unrolled: 1-line block ×3, first 2 shown]
	v_fma_f64 v[8:9], s[6:7], v[76:77], v[20:21]
	v_add_f64 v[6:7], v[12:13], -v[6:7]
	v_fmac_f64_e32 v[8:9], s[6:7], v[78:79]
	v_and_b32_e32 v1, 64, v0
	v_fma_f64 v[10:11], v[12:13], 2.0, -v[6:7]
	v_fma_f64 v[12:13], v[20:21], 2.0, -v[8:9]
	v_mov_b32_e32 v20, 0x280
	v_cmp_ne_u32_e64 s[0:1], 0, v1
	v_lshl_add_u32 v70, v92, 6, 0
	v_add_f64 v[46:47], v[44:45], -v[38:39]
	v_cndmask_b32_e64 v71, 0, v20, s[0:1]
	v_lshl_add_u32 v1, v71, 3, v70
	ds_write_b128 v1, v[10:13]
	v_fma_f64 v[12:13], s[2:3], v[56:57], v[72:73]
	v_add_f64 v[10:11], v[58:59], -v[46:47]
	v_fmac_f64_e32 v[12:13], s[6:7], v[74:75]
	v_fma_f64 v[36:37], v[58:59], 2.0, -v[10:11]
	v_fma_f64 v[38:39], v[72:73], 2.0, -v[12:13]
	ds_write_b128 v1, v[36:39] offset:16
	ds_write_b128 v1, v[6:9] offset:32
	;; [unrolled: 1-line block ×3, first 2 shown]
	v_add_f64 v[20:21], v[28:29], -v[64:65]
	v_add_f64 v[12:13], v[4:5], -v[50:51]
	;; [unrolled: 1-line block ×3, first 2 shown]
	v_fma_f64 v[36:37], v[4:5], 2.0, -v[12:13]
	v_add_f64 v[4:5], v[42:43], -v[62:63]
	v_fma_f64 v[24:25], v[24:25], 2.0, -v[8:9]
	v_fma_f64 v[28:29], v[28:29], 2.0, -v[20:21]
	v_add_f64 v[38:39], v[30:31], -v[66:67]
	v_add_f64 v[10:11], v[2:3], -v[48:49]
	v_fma_f64 v[6:7], v[42:43], 2.0, -v[4:5]
	v_add_f64 v[28:29], v[24:25], -v[28:29]
	v_fma_f64 v[48:49], v[2:3], 2.0, -v[10:11]
	;; [unrolled: 2-line block ×3, first 2 shown]
	v_add_f64 v[32:33], v[8:9], -v[38:39]
	v_add_f64 v[24:25], v[36:37], -v[6:7]
	;; [unrolled: 1-line block ×3, first 2 shown]
	v_fma_f64 v[40:41], v[40:41], 2.0, -v[2:3]
	v_add_f64 v[66:67], v[2:3], v[12:13]
	v_add_f64 v[2:3], v[28:29], -v[24:25]
	v_fma_f64 v[4:5], s[2:3], v[42:43], v[32:33]
	v_fma_f64 v[64:65], v[8:9], 2.0, -v[32:33]
	v_fmac_f64_e32 v[4:5], s[6:7], v[66:67]
	v_fma_f64 v[6:7], v[28:29], 2.0, -v[2:3]
	v_add_f64 v[28:29], v[48:49], -v[40:41]
	v_fma_f64 v[40:41], v[10:11], 2.0, -v[42:43]
	v_fma_f64 v[8:9], v[32:33], 2.0, -v[4:5]
	;; [unrolled: 1-line block ×4, first 2 shown]
	v_fma_f64 v[12:13], s[6:7], v[40:41], v[64:65]
	v_mul_f64 v[58:59], v[76:77], s[2:3]
	v_mul_f64 v[60:61], v[78:79], s[2:3]
	;; [unrolled: 1-line block ×4, first 2 shown]
	v_add_f64 v[10:11], v[62:63], -v[32:33]
	v_mul_f64 v[40:41], v[40:41], s[2:3]
	v_fmac_f64_e32 v[12:13], s[6:7], v[48:49]
	v_mul_f64 v[48:49], v[48:49], s[2:3]
	v_mul_f64 v[32:33], v[42:43], s[2:3]
	;; [unrolled: 1-line block ×3, first 2 shown]
	v_cmp_gt_u32_e64 s[0:1], 16, v92
	v_lshlrev_b32_e32 v98, 3, v71
	s_and_saveexec_b64 s[2:3], s[0:1]
	s_cbranch_execz .LBB0_17
; %bb.16:
	v_lshlrev_b32_e32 v66, 6, v94
	v_fma_f64 v[64:65], v[64:65], 2.0, -v[12:13]
	v_fma_f64 v[62:63], v[62:63], 2.0, -v[10:11]
	v_add3_u32 v66, 0, v66, v98
	ds_write_b128 v66, v[62:65]
	ds_write_b128 v66, v[6:9] offset:16
	ds_write_b128 v66, v[10:13] offset:32
	;; [unrolled: 1-line block ×3, first 2 shown]
.LBB0_17:
	s_or_b64 exec, exec, s[2:3]
	v_add_f64 v[22:23], v[14:15], -v[22:23]
	v_fma_f64 v[14:15], v[14:15], 2.0, -v[22:23]
	v_fma_f64 v[18:19], v[18:19], 2.0, -v[54:55]
	v_add_f64 v[18:19], v[14:15], -v[18:19]
	v_fma_f64 v[14:15], v[14:15], 2.0, -v[18:19]
	v_add_f64 v[66:67], v[52:53], v[22:23]
	v_fma_f64 v[44:45], v[44:45], 2.0, -v[46:47]
	v_fma_f64 v[22:23], v[22:23], 2.0, -v[66:67]
	v_add_f64 v[52:53], v[14:15], -v[44:45]
	v_fma_f64 v[62:63], v[14:15], 2.0, -v[52:53]
	v_add_f64 v[14:15], v[22:23], -v[60:61]
	v_add_f64 v[54:55], v[58:59], v[14:15]
	v_add_f64 v[14:15], v[56:57], v[66:67]
	;; [unrolled: 1-line block ×4, first 2 shown]
	v_add_f64 v[14:15], v[26:27], -v[34:35]
	v_fma_f64 v[72:73], v[18:19], 2.0, -v[58:59]
	v_fma_f64 v[16:17], v[26:27], 2.0, -v[14:15]
	v_fma_f64 v[18:19], v[30:31], 2.0, -v[38:39]
	v_fma_f64 v[64:65], v[22:23], 2.0, -v[54:55]
	v_add_f64 v[22:23], v[16:17], -v[18:19]
	v_add_f64 v[26:27], v[20:21], v[14:15]
	v_fma_f64 v[46:47], v[16:17], 2.0, -v[22:23]
	v_add_f64 v[16:17], v[42:43], v[26:27]
	v_add_f64 v[16:17], v[32:33], v[16:17]
	v_fma_f64 v[44:45], v[14:15], 2.0, -v[26:27]
	v_fma_f64 v[14:15], v[36:37], 2.0, -v[24:25]
	;; [unrolled: 1-line block ×3, first 2 shown]
	v_lshlrev_b32_e32 v26, 3, v92
	v_add3_u32 v97, 0, v98, v26
	v_mul_i32_i24_e32 v26, 0xffffffc8, v92
	v_add_f64 v[18:19], v[46:47], -v[14:15]
	v_add_f64 v[14:15], v[44:45], -v[48:49]
	v_lshl_add_u32 v48, v94, 3, 0
	v_add3_u32 v96, v70, v26, v98
	v_add_f64 v[20:21], v[40:41], v[14:15]
	v_add_f64 v[14:15], v[28:29], v[22:23]
	s_waitcnt lgkmcnt(0)
	s_barrier
	v_add_u32_e32 v95, v48, v98
	ds_read_b64 v[42:43], v97
	ds_read_b64 v[50:51], v95
	ds_read2st64_b64 v[38:41], v96 offset0:2 offset1:3
	ds_read2st64_b64 v[34:37], v96 offset0:4 offset1:5
	;; [unrolled: 1-line block ×4, first 2 shown]
	v_fma_f64 v[22:23], v[22:23], 2.0, -v[14:15]
	v_fma_f64 v[74:75], v[66:67], 2.0, -v[60:61]
	s_waitcnt lgkmcnt(0)
	s_barrier
	ds_write_b128 v1, v[62:65]
	ds_write_b128 v1, v[72:75] offset:16
	ds_write_b128 v1, v[52:55] offset:32
	;; [unrolled: 1-line block ×3, first 2 shown]
	s_and_saveexec_b64 s[2:3], s[0:1]
	s_cbranch_execz .LBB0_19
; %bb.18:
	v_mul_i32_i24_e32 v1, 56, v94
	v_fma_f64 v[52:53], v[46:47], 2.0, -v[18:19]
	v_fma_f64 v[54:55], v[44:45], 2.0, -v[20:21]
	v_add3_u32 v1, v48, v1, v98
	ds_write_b128 v1, v[52:55]
	ds_write_b128 v1, v[22:25] offset:16
	ds_write_b128 v1, v[18:21] offset:32
	;; [unrolled: 1-line block ×3, first 2 shown]
.LBB0_19:
	s_or_b64 exec, exec, s[2:3]
	v_and_b32_e32 v99, 7, v0
	v_mul_u32_u24_e32 v0, 9, v99
	v_lshlrev_b32_e32 v0, 4, v0
	s_waitcnt lgkmcnt(0)
	s_barrier
	global_load_dwordx4 v[52:55], v0, s[4:5] offset:16
	global_load_dwordx4 v[56:59], v0, s[4:5] offset:32
	;; [unrolled: 1-line block ×4, first 2 shown]
	global_load_dwordx4 v[76:79], v0, s[4:5]
	global_load_dwordx4 v[80:83], v0, s[4:5] offset:80
	global_load_dwordx4 v[84:87], v0, s[4:5] offset:96
	;; [unrolled: 1-line block ×4, first 2 shown]
	ds_read2st64_b64 v[70:73], v96 offset0:2 offset1:3
	ds_read2st64_b64 v[104:107], v96 offset0:4 offset1:5
	ds_read_b64 v[44:45], v97
	ds_read_b64 v[0:1], v95
	ds_read2st64_b64 v[108:111], v96 offset0:6 offset1:7
	ds_read2st64_b64 v[112:115], v96 offset0:8 offset1:9
	s_mov_b32 s14, 0x134454ff
	s_mov_b32 s15, 0x3fee6f0e
	;; [unrolled: 1-line block ×12, first 2 shown]
	s_waitcnt lgkmcnt(0)
	s_barrier
	s_waitcnt vmcnt(8)
	v_mul_f64 v[48:49], v[70:71], v[54:55]
	v_mul_f64 v[46:47], v[38:39], v[54:55]
	v_fma_f64 v[48:49], v[38:39], v[52:53], -v[48:49]
	s_waitcnt vmcnt(7)
	v_mul_f64 v[38:39], v[72:73], v[58:59]
	v_fmac_f64_e32 v[46:47], v[70:71], v[52:53]
	v_fma_f64 v[38:39], v[40:41], v[56:57], -v[38:39]
	v_mul_f64 v[52:53], v[40:41], v[58:59]
	s_waitcnt vmcnt(6)
	v_mul_f64 v[40:41], v[104:105], v[62:63]
	v_mul_f64 v[62:63], v[34:35], v[62:63]
	s_waitcnt vmcnt(5)
	v_mul_f64 v[58:59], v[106:107], v[66:67]
	v_fma_f64 v[74:75], v[34:35], v[60:61], -v[40:41]
	s_waitcnt vmcnt(3)
	v_mul_f64 v[34:35], v[108:109], v[82:83]
	v_fmac_f64_e32 v[52:53], v[72:73], v[56:57]
	v_mul_f64 v[54:55], v[36:37], v[66:67]
	v_mul_f64 v[70:71], v[0:1], v[78:79]
	;; [unrolled: 1-line block ×3, first 2 shown]
	v_fma_f64 v[36:37], v[36:37], v[64:65], -v[58:59]
	v_mul_f64 v[66:67], v[30:31], v[82:83]
	s_waitcnt vmcnt(2)
	v_mul_f64 v[40:41], v[110:111], v[86:87]
	s_waitcnt vmcnt(1)
	v_mul_f64 v[58:59], v[112:113], v[90:91]
	v_mul_f64 v[72:73], v[26:27], v[90:91]
	v_fma_f64 v[30:31], v[30:31], v[80:81], -v[34:35]
	v_fmac_f64_e32 v[62:63], v[104:105], v[60:61]
	v_fmac_f64_e32 v[54:55], v[106:107], v[64:65]
	v_mul_f64 v[64:65], v[32:33], v[86:87]
	s_waitcnt vmcnt(0)
	v_mul_f64 v[60:61], v[114:115], v[102:103]
	v_fma_f64 v[50:51], v[50:51], v[76:77], -v[70:71]
	v_fmac_f64_e32 v[56:57], v[0:1], v[76:77]
	v_fma_f64 v[0:1], v[32:33], v[84:85], -v[40:41]
	v_fma_f64 v[76:77], v[26:27], v[88:89], -v[58:59]
	v_fmac_f64_e32 v[72:73], v[112:113], v[88:89]
	v_add_f64 v[32:33], v[74:75], v[30:31]
	v_fmac_f64_e32 v[66:67], v[108:109], v[80:81]
	v_fma_f64 v[26:27], v[28:29], v[100:101], -v[60:61]
	v_add_f64 v[34:35], v[46:47], -v[72:73]
	v_add_f64 v[58:59], v[48:49], -v[74:75]
	;; [unrolled: 1-line block ×3, first 2 shown]
	v_add_f64 v[78:79], v[48:49], v[76:77]
	v_fma_f64 v[32:33], -0.5, v[32:33], v[42:43]
	v_mul_f64 v[70:71], v[28:29], v[102:103]
	v_add_f64 v[28:29], v[42:43], v[48:49]
	v_add_f64 v[40:41], v[62:63], -v[66:67]
	v_add_f64 v[58:59], v[58:59], v[60:61]
	v_fmac_f64_e32 v[42:43], -0.5, v[78:79]
	v_fma_f64 v[60:61], s[14:15], v[34:35], v[32:33]
	v_fmac_f64_e32 v[32:33], s[10:11], v[34:35]
	v_fmac_f64_e32 v[70:71], v[114:115], v[100:101]
	v_add_f64 v[80:81], v[74:75], -v[48:49]
	v_add_f64 v[82:83], v[30:31], -v[76:77]
	v_fma_f64 v[100:101], s[10:11], v[40:41], v[42:43]
	v_fmac_f64_e32 v[60:61], s[6:7], v[40:41]
	v_fmac_f64_e32 v[32:33], s[12:13], v[40:41]
	;; [unrolled: 1-line block ×3, first 2 shown]
	v_add_f64 v[40:41], v[36:37], v[0:1]
	v_fmac_f64_e32 v[64:65], v[110:111], v[84:85]
	v_fmac_f64_e32 v[100:101], s[6:7], v[34:35]
	;; [unrolled: 1-line block ×4, first 2 shown]
	v_add_f64 v[58:59], v[80:81], v[82:83]
	v_fmac_f64_e32 v[42:43], s[12:13], v[34:35]
	v_fma_f64 v[78:79], -0.5, v[40:41], v[50:51]
	v_add_f64 v[40:41], v[52:53], -v[70:71]
	v_fmac_f64_e32 v[100:101], s[2:3], v[58:59]
	v_fmac_f64_e32 v[42:43], s[2:3], v[58:59]
	v_fma_f64 v[80:81], s[14:15], v[40:41], v[78:79]
	v_add_f64 v[58:59], v[54:55], -v[64:65]
	v_add_f64 v[82:83], v[38:39], -v[36:37]
	;; [unrolled: 1-line block ×3, first 2 shown]
	v_fmac_f64_e32 v[78:79], s[10:11], v[40:41]
	v_fmac_f64_e32 v[80:81], s[6:7], v[58:59]
	v_add_f64 v[82:83], v[82:83], v[84:85]
	v_fmac_f64_e32 v[78:79], s[12:13], v[58:59]
	v_fmac_f64_e32 v[80:81], s[2:3], v[82:83]
	;; [unrolled: 1-line block ×3, first 2 shown]
	v_add_f64 v[82:83], v[38:39], v[26:27]
	v_add_f64 v[34:35], v[50:51], v[38:39]
	v_fmac_f64_e32 v[50:51], -0.5, v[82:83]
	v_add_f64 v[34:35], v[34:35], v[36:37]
	v_fma_f64 v[82:83], s[10:11], v[58:59], v[50:51]
	v_add_f64 v[84:85], v[36:37], -v[38:39]
	v_add_f64 v[86:87], v[0:1], -v[26:27]
	v_fmac_f64_e32 v[50:51], s[14:15], v[58:59]
	v_add_f64 v[34:35], v[34:35], v[0:1]
	v_fmac_f64_e32 v[82:83], s[6:7], v[40:41]
	v_add_f64 v[84:85], v[84:85], v[86:87]
	;; [unrolled: 2-line block ×3, first 2 shown]
	v_add_f64 v[34:35], v[34:35], v[26:27]
	v_fmac_f64_e32 v[82:83], s[2:3], v[84:85]
	v_fmac_f64_e32 v[50:51], s[2:3], v[84:85]
	v_fma_f64 v[84:85], -0.5, v[40:41], v[56:57]
	v_add_f64 v[26:27], v[38:39], -v[26:27]
	v_fma_f64 v[86:87], s[10:11], v[26:27], v[84:85]
	v_add_f64 v[0:1], v[36:37], -v[0:1]
	v_add_f64 v[36:37], v[52:53], -v[54:55]
	;; [unrolled: 1-line block ×3, first 2 shown]
	v_fmac_f64_e32 v[84:85], s[14:15], v[26:27]
	v_fmac_f64_e32 v[86:87], s[12:13], v[0:1]
	v_add_f64 v[36:37], v[36:37], v[38:39]
	v_fmac_f64_e32 v[84:85], s[6:7], v[0:1]
	v_fmac_f64_e32 v[86:87], s[2:3], v[36:37]
	v_fmac_f64_e32 v[84:85], s[2:3], v[36:37]
	v_add_f64 v[36:37], v[52:53], v[70:71]
	v_fma_f64 v[88:89], -0.5, v[36:37], v[56:57]
	v_add_f64 v[28:29], v[28:29], v[74:75]
	v_fma_f64 v[90:91], s[14:15], v[0:1], v[88:89]
	v_add_f64 v[36:37], v[54:55], -v[52:53]
	v_add_f64 v[38:39], v[64:65], -v[70:71]
	v_add_f64 v[28:29], v[28:29], v[30:31]
	v_fmac_f64_e32 v[90:91], s[12:13], v[26:27]
	v_add_f64 v[36:37], v[36:37], v[38:39]
	v_fmac_f64_e32 v[88:89], s[10:11], v[0:1]
	;; [unrolled: 2-line block ×3, first 2 shown]
	v_fmac_f64_e32 v[88:89], s[6:7], v[26:27]
	v_fmac_f64_e32 v[88:89], s[2:3], v[36:37]
	v_add_f64 v[36:37], v[28:29], v[34:35]
	v_mul_f64 v[26:27], v[90:91], s[14:15]
	v_add_f64 v[28:29], v[28:29], -v[34:35]
	v_mul_f64 v[34:35], v[78:79], s[16:17]
	v_fmac_f64_e32 v[26:27], s[2:3], v[82:83]
	v_fma_f64 v[34:35], v[84:85], s[6:7], -v[34:35]
	v_add_f64 v[40:41], v[100:101], v[26:27]
	v_add_f64 v[104:105], v[32:33], v[34:35]
	v_add_f64 v[100:101], v[100:101], -v[26:27]
	v_add_f64 v[26:27], v[32:33], -v[34:35]
	v_lshrrev_b32_e32 v32, 3, v92
	v_mul_u32_u24_e32 v32, 0x50, v32
	v_mul_f64 v[0:1], v[86:87], s[6:7]
	v_or_b32_e32 v32, v32, v99
	v_fmac_f64_e32 v[0:1], s[16:17], v[80:81]
	v_mul_f64 v[58:59], v[50:51], s[2:3]
	v_lshlrev_b32_e32 v32, 3, v32
	v_add_f64 v[38:39], v[60:61], v[0:1]
	v_fma_f64 v[58:59], v[88:89], s[14:15], -v[58:59]
	v_add3_u32 v98, 0, v32, v98
	v_add_f64 v[102:103], v[42:43], v[58:59]
	v_add_f64 v[60:61], v[60:61], -v[0:1]
	v_add_f64 v[0:1], v[42:43], -v[58:59]
	ds_write2_b64 v98, v[36:37], v[38:39] offset1:8
	ds_write2_b64 v98, v[40:41], v[102:103] offset0:16 offset1:24
	ds_write2_b64 v98, v[104:105], v[28:29] offset0:32 offset1:40
	;; [unrolled: 1-line block ×4, first 2 shown]
	v_add_u32_e32 v99, 0x400, v96
	v_add_u32_e32 v100, 0x800, v96
	s_waitcnt lgkmcnt(0)
	s_barrier
	ds_read2_b64 v[36:39], v96 offset0:80 offset1:160
	ds_read2_b64 v[32:35], v99 offset0:112 offset1:192
	;; [unrolled: 1-line block ×3, first 2 shown]
	ds_read_b64 v[58:59], v97
	ds_read_b64 v[60:61], v96 offset:4480
	s_and_saveexec_b64 s[18:19], s[0:1]
	s_cbranch_execz .LBB0_21
; %bb.20:
	ds_read2_b64 v[26:29], v96 offset0:144 offset1:224
	ds_read2_b64 v[8:11], v100 offset0:48 offset1:128
	v_add_u32_e32 v0, 0xc00, v96
	ds_read2_b64 v[102:105], v0 offset0:80 offset1:160
	ds_read_b64 v[0:1], v95
	ds_read_b64 v[4:5], v96 offset:4992
	s_waitcnt lgkmcnt(4)
	v_mov_b64_e32 v[6:7], v[28:29]
	s_waitcnt lgkmcnt(2)
	v_mov_b64_e32 v[2:3], v[104:105]
	v_mov_b64_e32 v[12:13], v[102:103]
.LBB0_21:
	s_or_b64 exec, exec, s[18:19]
	v_add_f64 v[102:103], v[62:63], v[66:67]
	v_fma_f64 v[102:103], -0.5, v[102:103], v[44:45]
	v_add_f64 v[48:49], v[48:49], -v[76:77]
	v_fma_f64 v[76:77], s[10:11], v[48:49], v[102:103]
	v_add_f64 v[30:31], v[74:75], -v[30:31]
	v_add_f64 v[74:75], v[46:47], -v[62:63]
	;; [unrolled: 1-line block ×3, first 2 shown]
	v_fmac_f64_e32 v[102:103], s[14:15], v[48:49]
	v_fmac_f64_e32 v[76:77], s[12:13], v[30:31]
	v_add_f64 v[74:75], v[74:75], v[104:105]
	v_fmac_f64_e32 v[102:103], s[6:7], v[30:31]
	v_fmac_f64_e32 v[76:77], s[2:3], v[74:75]
	;; [unrolled: 1-line block ×3, first 2 shown]
	v_add_f64 v[74:75], v[46:47], v[72:73]
	v_add_f64 v[28:29], v[44:45], v[46:47]
	v_fmac_f64_e32 v[44:45], -0.5, v[74:75]
	v_fma_f64 v[74:75], s[14:15], v[30:31], v[44:45]
	v_fmac_f64_e32 v[44:45], s[10:11], v[30:31]
	v_add_f64 v[30:31], v[56:57], v[52:53]
	v_add_f64 v[28:29], v[28:29], v[62:63]
	v_add_f64 v[46:47], v[62:63], -v[46:47]
	v_add_f64 v[62:63], v[66:67], -v[72:73]
	v_add_f64 v[30:31], v[30:31], v[54:55]
	v_add_f64 v[28:29], v[28:29], v[66:67]
	v_fmac_f64_e32 v[74:75], s[12:13], v[48:49]
	v_add_f64 v[46:47], v[46:47], v[62:63]
	v_fmac_f64_e32 v[44:45], s[6:7], v[48:49]
	v_add_f64 v[30:31], v[30:31], v[64:65]
	v_mul_f64 v[48:49], v[80:81], s[12:13]
	v_mul_f64 v[54:55], v[82:83], s[10:11]
	;; [unrolled: 1-line block ×3, first 2 shown]
	v_add_f64 v[28:29], v[28:29], v[72:73]
	v_fmac_f64_e32 v[74:75], s[2:3], v[46:47]
	v_fmac_f64_e32 v[44:45], s[2:3], v[46:47]
	v_add_f64 v[30:31], v[30:31], v[70:71]
	v_fmac_f64_e32 v[48:49], s[16:17], v[86:87]
	v_fmac_f64_e32 v[54:55], s[2:3], v[90:91]
	v_fma_f64 v[50:51], v[50:51], s[10:11], -v[56:57]
	v_mul_f64 v[56:57], v[84:85], s[16:17]
	v_add_f64 v[46:47], v[28:29], v[30:31]
	v_add_f64 v[52:53], v[76:77], v[48:49]
	;; [unrolled: 1-line block ×4, first 2 shown]
	v_fma_f64 v[66:67], v[78:79], s[12:13], -v[56:57]
	v_add_f64 v[48:49], v[76:77], -v[48:49]
	v_add_f64 v[54:55], v[74:75], -v[54:55]
	v_add_f64 v[70:71], v[102:103], v[66:67]
	v_add_f64 v[30:31], v[28:29], -v[30:31]
	v_add_f64 v[56:57], v[44:45], -v[50:51]
	;; [unrolled: 1-line block ×3, first 2 shown]
	s_waitcnt lgkmcnt(0)
	s_barrier
	ds_write2_b64 v98, v[46:47], v[52:53] offset1:8
	ds_write2_b64 v98, v[62:63], v[64:65] offset0:16 offset1:24
	ds_write2_b64 v98, v[70:71], v[30:31] offset0:32 offset1:40
	;; [unrolled: 1-line block ×4, first 2 shown]
	s_waitcnt lgkmcnt(0)
	s_barrier
	ds_read2_b64 v[44:47], v96 offset0:80 offset1:160
	ds_read2_b64 v[52:55], v99 offset0:112 offset1:192
	;; [unrolled: 1-line block ×3, first 2 shown]
	ds_read_b64 v[62:63], v97
	ds_read_b64 v[64:65], v96 offset:4480
	s_and_saveexec_b64 s[2:3], s[0:1]
	s_cbranch_execz .LBB0_23
; %bb.22:
	v_add_u32_e32 v14, 0x800, v96
	ds_read2_b64 v[28:31], v96 offset0:144 offset1:224
	ds_read2_b64 v[18:21], v14 offset0:48 offset1:128
	v_add_u32_e32 v14, 0xc00, v96
	ds_read2_b64 v[70:73], v14 offset0:80 offset1:160
	ds_read_b64 v[56:57], v95
	ds_read_b64 v[16:17], v96 offset:4992
	s_waitcnt lgkmcnt(4)
	v_mov_b64_e32 v[22:23], v[30:31]
	s_waitcnt lgkmcnt(3)
	v_mov_b64_e32 v[24:25], v[18:19]
	v_mov_b64_e32 v[18:19], v[20:21]
	s_waitcnt lgkmcnt(2)
	v_mov_b64_e32 v[14:15], v[72:73]
	v_mov_b64_e32 v[20:21], v[70:71]
.LBB0_23:
	s_or_b64 exec, exec, s[2:3]
	s_and_saveexec_b64 s[0:1], vcc
	s_cbranch_execz .LBB0_26
; %bb.24:
	v_mul_u32_u24_e32 v30, 7, v92
	v_lshlrev_b32_e32 v30, 4, v30
	global_load_dwordx4 v[70:73], v30, s[4:5] offset:1200
	global_load_dwordx4 v[74:77], v30, s[4:5] offset:1168
	;; [unrolled: 1-line block ×7, first 2 shown]
	s_mov_b32 s0, 0x667f3bcd
	s_mov_b32 s1, 0x3fe6a09e
	s_mov_b32 s3, 0xbfe6a09e
	s_mov_b32 s2, s0
	s_waitcnt vmcnt(6)
	v_mul_f64 v[30:31], v[34:35], v[72:73]
	s_waitcnt vmcnt(5) lgkmcnt(4)
	v_mul_f64 v[66:67], v[46:47], v[76:77]
	s_waitcnt vmcnt(4) lgkmcnt(2)
	v_mul_f64 v[90:91], v[50:51], v[80:81]
	s_waitcnt vmcnt(3)
	v_mul_f64 v[104:105], v[44:45], v[84:85]
	s_waitcnt vmcnt(2)
	;; [unrolled: 2-line block ×4, first 2 shown]
	v_mul_f64 v[110:111], v[60:61], v[102:103]
	v_mul_f64 v[84:85], v[36:37], v[84:85]
	;; [unrolled: 1-line block ×4, first 2 shown]
	s_waitcnt lgkmcnt(0)
	v_mul_f64 v[102:103], v[64:65], v[102:103]
	v_mul_f64 v[72:73], v[54:55], v[72:73]
	;; [unrolled: 1-line block ×4, first 2 shown]
	v_fmac_f64_e32 v[30:31], v[54:55], v[70:71]
	v_fma_f64 v[38:39], v[38:39], v[74:75], -v[66:67]
	v_fma_f64 v[42:43], v[42:43], v[78:79], -v[90:91]
	;; [unrolled: 1-line block ×4, first 2 shown]
	v_fmac_f64_e32 v[108:109], v[52:53], v[96:97]
	v_fmac_f64_e32 v[110:111], v[64:65], v[100:101]
	;; [unrolled: 1-line block ×4, first 2 shown]
	v_fma_f64 v[32:33], v[32:33], v[96:97], -v[98:99]
	v_fma_f64 v[44:45], v[60:61], v[100:101], -v[102:103]
	;; [unrolled: 1-line block ×3, first 2 shown]
	v_fmac_f64_e32 v[76:77], v[46:47], v[74:75]
	v_fmac_f64_e32 v[80:81], v[50:51], v[78:79]
	v_add_f64 v[46:47], v[62:63], -v[30:31]
	v_add_f64 v[30:31], v[38:39], -v[42:43]
	;; [unrolled: 1-line block ×8, first 2 shown]
	v_add_f64 v[52:53], v[46:47], v[30:31]
	v_add_f64 v[54:55], v[40:41], -v[42:43]
	v_add_f64 v[60:61], v[48:49], v[44:45]
	v_add_f64 v[64:65], v[34:35], -v[50:51]
	v_fma_f64 v[62:63], v[62:63], 2.0, -v[46:47]
	v_fma_f64 v[50:51], v[76:77], 2.0, -v[50:51]
	v_fma_f64 v[66:67], v[36:37], 2.0, -v[40:41]
	v_fma_f64 v[36:37], v[32:33], 2.0, -v[44:45]
	v_fma_f64 v[44:45], v[58:59], 2.0, -v[34:35]
	v_fma_f64 v[58:59], v[84:85], 2.0, -v[48:49]
	v_fma_f64 v[42:43], v[108:109], 2.0, -v[42:43]
	v_fma_f64 v[38:39], v[38:39], 2.0, -v[30:31]
	v_fma_f64 v[32:33], s[0:1], v[60:61], v[52:53]
	v_add_f64 v[50:51], v[62:63], -v[50:51]
	v_add_f64 v[42:43], v[58:59], -v[42:43]
	v_fma_f64 v[30:31], s[0:1], v[54:55], v[64:65]
	v_add_f64 v[72:73], v[44:45], -v[38:39]
	v_fma_f64 v[76:77], v[40:41], 2.0, -v[54:55]
	v_fmac_f64_e32 v[32:33], s[0:1], v[54:55]
	v_fma_f64 v[54:55], v[62:63], 2.0, -v[50:51]
	v_fma_f64 v[58:59], v[58:59], 2.0, -v[42:43]
	v_add_f64 v[70:71], v[66:67], -v[36:37]
	v_fma_f64 v[74:75], v[46:47], 2.0, -v[52:53]
	v_fmac_f64_e32 v[30:31], s[2:3], v[60:61]
	v_fma_f64 v[62:63], v[44:45], 2.0, -v[72:73]
	v_fma_f64 v[44:45], v[52:53], 2.0, -v[32:33]
	v_add_f64 v[52:53], v[54:55], -v[58:59]
	v_fma_f64 v[80:81], v[34:35], 2.0, -v[64:65]
	v_add_f64 v[36:37], v[50:51], v[70:71]
	v_add_f64 v[34:35], v[72:73], -v[42:43]
	v_fma_f64 v[42:43], v[64:65], 2.0, -v[30:31]
	v_fma_f64 v[64:65], v[54:55], 2.0, -v[52:53]
	v_mad_u64_u32 v[54:55], s[6:7], s8, v92, 0
	v_fma_f64 v[78:79], v[48:49], 2.0, -v[60:61]
	v_fma_f64 v[48:49], v[50:51], 2.0, -v[36:37]
	;; [unrolled: 1-line block ×3, first 2 shown]
	v_mov_b32_e32 v66, v55
	v_mad_u64_u32 v[66:67], s[6:7], s9, v92, v[66:67]
	v_add_f64 v[50:51], v[62:63], -v[50:51]
	v_mov_b32_e32 v55, v66
	v_fma_f64 v[62:63], v[62:63], 2.0, -v[50:51]
	v_lshl_add_u64 v[54:55], v[54:55], 4, v[68:69]
	global_store_dwordx4 v[54:55], v[62:65], off
	v_fma_f64 v[40:41], s[2:3], v[78:79], v[74:75]
	v_fma_f64 v[38:39], s[2:3], v[76:77], v[80:81]
	v_add_u32_e32 v63, 0x50, v92
	v_mad_u64_u32 v[54:55], s[10:11], s8, v63, 0
	v_mov_b32_e32 v62, v55
	v_mad_u64_u32 v[62:63], s[10:11], s9, v63, v[62:63]
	v_fmac_f64_e32 v[40:41], s[0:1], v[76:77]
	v_fmac_f64_e32 v[38:39], s[2:3], v[78:79]
	v_mov_b32_e32 v55, v62
	v_fma_f64 v[60:61], v[74:75], 2.0, -v[40:41]
	v_fma_f64 v[58:59], v[80:81], 2.0, -v[38:39]
	v_lshl_add_u64 v[54:55], v[54:55], 4, v[68:69]
	global_store_dwordx4 v[54:55], v[58:61], off
	v_fma_f64 v[46:47], v[72:73], 2.0, -v[34:35]
	s_movk_i32 s6, 0x50
	v_add_u32_e32 v59, 0xa0, v92
	v_mad_u64_u32 v[54:55], s[10:11], s8, v59, 0
	v_mov_b32_e32 v58, v55
	v_mad_u64_u32 v[58:59], s[10:11], s9, v59, v[58:59]
	v_mov_b32_e32 v55, v58
	v_lshl_add_u64 v[54:55], v[54:55], 4, v[68:69]
	global_store_dwordx4 v[54:55], v[46:49], off
	v_cmp_gt_u32_e32 vcc, s6, v93
	s_nop 0
	v_add_u32_e32 v49, 0xf0, v92
	v_mad_u64_u32 v[46:47], s[10:11], s8, v49, 0
	v_mov_b32_e32 v48, v47
	v_mad_u64_u32 v[48:49], s[10:11], s9, v49, v[48:49]
	v_mov_b32_e32 v47, v48
	v_lshl_add_u64 v[46:47], v[46:47], 4, v[68:69]
	global_store_dwordx4 v[46:47], v[42:45], off
	s_nop 1
	v_or_b32_e32 v45, 0x140, v92
	v_mad_u64_u32 v[42:43], s[10:11], s8, v45, 0
	v_mov_b32_e32 v44, v43
	v_mad_u64_u32 v[44:45], s[10:11], s9, v45, v[44:45]
	v_mov_b32_e32 v43, v44
	v_lshl_add_u64 v[42:43], v[42:43], 4, v[68:69]
	v_add_u32_e32 v45, 0x190, v92
	global_store_dwordx4 v[42:43], v[50:53], off
	v_mad_u64_u32 v[42:43], s[10:11], s8, v45, 0
	v_mov_b32_e32 v44, v43
	v_mad_u64_u32 v[44:45], s[10:11], s9, v45, v[44:45]
	v_mov_b32_e32 v43, v44
	v_lshl_add_u64 v[42:43], v[42:43], 4, v[68:69]
	global_store_dwordx4 v[42:43], v[38:41], off
	s_nop 1
	v_add_u32_e32 v41, 0x1e0, v92
	v_mad_u64_u32 v[38:39], s[10:11], s8, v41, 0
	v_mov_b32_e32 v40, v39
	v_mad_u64_u32 v[40:41], s[10:11], s9, v41, v[40:41]
	v_mov_b32_e32 v39, v40
	v_lshl_add_u64 v[38:39], v[38:39], 4, v[68:69]
	global_store_dwordx4 v[38:39], v[34:37], off
	s_nop 1
	v_add_u32_e32 v37, 0x230, v92
	v_mad_u64_u32 v[34:35], s[10:11], s8, v37, 0
	v_mov_b32_e32 v36, v35
	v_mad_u64_u32 v[36:37], s[10:11], s9, v37, v[36:37]
	v_mov_b32_e32 v35, v36
	v_lshl_add_u64 v[34:35], v[34:35], 4, v[68:69]
	global_store_dwordx4 v[34:35], v[30:33], off
	s_and_b64 exec, exec, vcc
	s_cbranch_execz .LBB0_26
; %bb.25:
	v_add_u32_e32 v30, -16, v92
	v_cmp_gt_u32_e32 vcc, s6, v94
	v_mov_b32_e32 v31, 0
	s_nop 0
	v_cndmask_b32_e32 v30, v30, v94, vcc
	v_mul_i32_i24_e32 v30, 7, v30
	v_lshl_add_u64 v[54:55], v[30:31], 4, s[4:5]
	global_load_dwordx4 v[30:33], v[54:55], off offset:1152
	global_load_dwordx4 v[34:37], v[54:55], off offset:1168
	;; [unrolled: 1-line block ×7, first 2 shown]
	s_waitcnt vmcnt(6)
	v_mul_f64 v[54:55], v[28:29], v[32:33]
	v_mul_f64 v[32:33], v[26:27], v[32:33]
	s_waitcnt vmcnt(5)
	v_mul_f64 v[62:63], v[22:23], v[36:37]
	v_mul_f64 v[36:37], v[6:7], v[36:37]
	;; [unrolled: 3-line block ×7, first 2 shown]
	v_fma_f64 v[26:27], v[26:27], v[30:31], -v[54:55]
	v_fmac_f64_e32 v[32:33], v[28:29], v[30:31]
	v_fma_f64 v[6:7], v[6:7], v[34:35], -v[62:63]
	v_fmac_f64_e32 v[36:37], v[22:23], v[34:35]
	;; [unrolled: 2-line block ×7, first 2 shown]
	v_add_f64 v[10:11], v[0:1], -v[10:11]
	v_add_f64 v[14:15], v[56:57], -v[44:45]
	;; [unrolled: 1-line block ×8, first 2 shown]
	v_fma_f64 v[22:23], v[0:1], 2.0, -v[10:11]
	v_fma_f64 v[0:1], v[6:7], 2.0, -v[2:3]
	;; [unrolled: 1-line block ×7, first 2 shown]
	v_add_f64 v[32:33], v[10:11], -v[16:17]
	v_add_f64 v[34:35], v[14:15], v[2:3]
	v_add_f64 v[16:17], v[12:13], -v[20:21]
	v_add_f64 v[20:21], v[18:19], v[4:5]
	v_fma_f64 v[24:25], v[56:57], 2.0, -v[14:15]
	v_add_f64 v[36:37], v[22:23], -v[0:1]
	v_fma_f64 v[40:41], v[10:11], 2.0, -v[32:33]
	v_fma_f64 v[42:43], v[14:15], 2.0, -v[34:35]
	v_add_f64 v[10:11], v[26:27], -v[8:9]
	v_fma_f64 v[18:19], v[18:19], 2.0, -v[20:21]
	v_fma_f64 v[0:1], s[0:1], v[16:17], v[32:33]
	v_add_f64 v[38:39], v[24:25], -v[6:7]
	v_add_f64 v[8:9], v[28:29], -v[30:31]
	v_fma_f64 v[30:31], v[12:13], 2.0, -v[16:17]
	v_fma_f64 v[2:3], s[0:1], v[20:21], v[34:35]
	v_fma_f64 v[22:23], v[22:23], 2.0, -v[36:37]
	v_fma_f64 v[12:13], v[26:27], 2.0, -v[10:11]
	v_fma_f64 v[6:7], s[2:3], v[18:19], v[42:43]
	v_fmac_f64_e32 v[0:1], s[2:3], v[20:21]
	v_fmac_f64_e32 v[2:3], s[0:1], v[16:17]
	v_add_f64 v[12:13], v[22:23], -v[12:13]
	v_fmac_f64_e32 v[6:7], s[0:1], v[30:31]
	v_fma_f64 v[20:21], v[32:33], 2.0, -v[0:1]
	v_mad_u64_u32 v[32:33], s[0:1], s8, v93, 0
	v_fma_f64 v[44:45], v[24:25], 2.0, -v[38:39]
	v_fma_f64 v[24:25], v[22:23], 2.0, -v[12:13]
	;; [unrolled: 1-line block ×3, first 2 shown]
	v_mov_b32_e32 v34, v33
	v_fma_f64 v[14:15], v[28:29], 2.0, -v[8:9]
	v_mad_u64_u32 v[34:35], s[0:1], s9, v93, v[34:35]
	v_add_f64 v[14:15], v[44:45], -v[14:15]
	v_mov_b32_e32 v33, v34
	v_fma_f64 v[26:27], v[44:45], 2.0, -v[14:15]
	v_lshl_add_u64 v[32:33], v[32:33], 4, v[68:69]
	global_store_dwordx4 v[32:33], v[24:27], off
	v_fma_f64 v[4:5], s[2:3], v[30:31], v[40:41]
	v_fmac_f64_e32 v[4:5], s[2:3], v[18:19]
	v_add_u32_e32 v27, 0x90, v92
	v_mad_u64_u32 v[24:25], s[0:1], s8, v27, 0
	v_mov_b32_e32 v26, v25
	v_mad_u64_u32 v[26:27], s[0:1], s9, v27, v[26:27]
	v_mov_b32_e32 v25, v26
	v_fma_f64 v[28:29], v[40:41], 2.0, -v[4:5]
	v_fma_f64 v[30:31], v[42:43], 2.0, -v[6:7]
	v_lshl_add_u64 v[24:25], v[24:25], 4, v[68:69]
	v_add_u32_e32 v27, 0xe0, v92
	global_store_dwordx4 v[24:25], v[28:31], off
	v_mad_u64_u32 v[24:25], s[0:1], s8, v27, 0
	v_mov_b32_e32 v26, v25
	v_mad_u64_u32 v[26:27], s[0:1], s9, v27, v[26:27]
	v_add_f64 v[8:9], v[36:37], -v[8:9]
	v_add_f64 v[10:11], v[38:39], v[10:11]
	v_mov_b32_e32 v25, v26
	v_fma_f64 v[16:17], v[36:37], 2.0, -v[8:9]
	v_fma_f64 v[18:19], v[38:39], 2.0, -v[10:11]
	v_lshl_add_u64 v[24:25], v[24:25], 4, v[68:69]
	global_store_dwordx4 v[24:25], v[16:19], off
	s_nop 1
	v_add_u32_e32 v19, 0x130, v92
	v_mad_u64_u32 v[16:17], s[0:1], s8, v19, 0
	v_mov_b32_e32 v18, v17
	v_mad_u64_u32 v[18:19], s[0:1], s9, v19, v[18:19]
	v_mov_b32_e32 v17, v18
	v_lshl_add_u64 v[16:17], v[16:17], 4, v[68:69]
	v_or_b32_e32 v19, 0x180, v92
	global_store_dwordx4 v[16:17], v[20:23], off
	v_mad_u64_u32 v[16:17], s[0:1], s8, v19, 0
	v_mov_b32_e32 v18, v17
	v_mad_u64_u32 v[18:19], s[0:1], s9, v19, v[18:19]
	v_mov_b32_e32 v17, v18
	v_lshl_add_u64 v[16:17], v[16:17], 4, v[68:69]
	global_store_dwordx4 v[16:17], v[12:15], off
	s_nop 1
	v_add_u32_e32 v15, 0x1d0, v92
	v_mad_u64_u32 v[12:13], s[0:1], s8, v15, 0
	v_mov_b32_e32 v14, v13
	v_mad_u64_u32 v[14:15], s[0:1], s9, v15, v[14:15]
	v_mov_b32_e32 v13, v14
	v_lshl_add_u64 v[12:13], v[12:13], 4, v[68:69]
	global_store_dwordx4 v[12:13], v[4:7], off
	s_nop 1
	v_add_u32_e32 v7, 0x220, v92
	v_mad_u64_u32 v[4:5], s[0:1], s8, v7, 0
	v_mov_b32_e32 v6, v5
	v_mad_u64_u32 v[6:7], s[0:1], s9, v7, v[6:7]
	v_mov_b32_e32 v5, v6
	v_lshl_add_u64 v[4:5], v[4:5], 4, v[68:69]
	v_add_u32_e32 v7, 0x270, v92
	global_store_dwordx4 v[4:5], v[8:11], off
	v_mad_u64_u32 v[4:5], s[0:1], s8, v7, 0
	v_mov_b32_e32 v6, v5
	v_mad_u64_u32 v[6:7], s[0:1], s9, v7, v[6:7]
	v_mov_b32_e32 v5, v6
	v_lshl_add_u64 v[4:5], v[4:5], 4, v[68:69]
	global_store_dwordx4 v[4:5], v[0:3], off
.LBB0_26:
	s_endpgm
	.section	.rodata,"a",@progbits
	.p2align	6, 0x0
	.amdhsa_kernel fft_rtc_fwd_len640_factors_8_10_8_wgs_128_tpt_64_halfLds_dp_ip_CI_sbrr_dirReg
		.amdhsa_group_segment_fixed_size 0
		.amdhsa_private_segment_fixed_size 0
		.amdhsa_kernarg_size 88
		.amdhsa_user_sgpr_count 2
		.amdhsa_user_sgpr_dispatch_ptr 0
		.amdhsa_user_sgpr_queue_ptr 0
		.amdhsa_user_sgpr_kernarg_segment_ptr 1
		.amdhsa_user_sgpr_dispatch_id 0
		.amdhsa_user_sgpr_kernarg_preload_length 0
		.amdhsa_user_sgpr_kernarg_preload_offset 0
		.amdhsa_user_sgpr_private_segment_size 0
		.amdhsa_uses_dynamic_stack 0
		.amdhsa_enable_private_segment 0
		.amdhsa_system_sgpr_workgroup_id_x 1
		.amdhsa_system_sgpr_workgroup_id_y 0
		.amdhsa_system_sgpr_workgroup_id_z 0
		.amdhsa_system_sgpr_workgroup_info 0
		.amdhsa_system_vgpr_workitem_id 0
		.amdhsa_next_free_vgpr 116
		.amdhsa_next_free_sgpr 24
		.amdhsa_accum_offset 116
		.amdhsa_reserve_vcc 1
		.amdhsa_float_round_mode_32 0
		.amdhsa_float_round_mode_16_64 0
		.amdhsa_float_denorm_mode_32 3
		.amdhsa_float_denorm_mode_16_64 3
		.amdhsa_dx10_clamp 1
		.amdhsa_ieee_mode 1
		.amdhsa_fp16_overflow 0
		.amdhsa_tg_split 0
		.amdhsa_exception_fp_ieee_invalid_op 0
		.amdhsa_exception_fp_denorm_src 0
		.amdhsa_exception_fp_ieee_div_zero 0
		.amdhsa_exception_fp_ieee_overflow 0
		.amdhsa_exception_fp_ieee_underflow 0
		.amdhsa_exception_fp_ieee_inexact 0
		.amdhsa_exception_int_div_zero 0
	.end_amdhsa_kernel
	.text
.Lfunc_end0:
	.size	fft_rtc_fwd_len640_factors_8_10_8_wgs_128_tpt_64_halfLds_dp_ip_CI_sbrr_dirReg, .Lfunc_end0-fft_rtc_fwd_len640_factors_8_10_8_wgs_128_tpt_64_halfLds_dp_ip_CI_sbrr_dirReg
                                        ; -- End function
	.section	.AMDGPU.csdata,"",@progbits
; Kernel info:
; codeLenInByte = 7412
; NumSgprs: 30
; NumVgprs: 116
; NumAgprs: 0
; TotalNumVgprs: 116
; ScratchSize: 0
; MemoryBound: 1
; FloatMode: 240
; IeeeMode: 1
; LDSByteSize: 0 bytes/workgroup (compile time only)
; SGPRBlocks: 3
; VGPRBlocks: 14
; NumSGPRsForWavesPerEU: 30
; NumVGPRsForWavesPerEU: 116
; AccumOffset: 116
; Occupancy: 4
; WaveLimiterHint : 1
; COMPUTE_PGM_RSRC2:SCRATCH_EN: 0
; COMPUTE_PGM_RSRC2:USER_SGPR: 2
; COMPUTE_PGM_RSRC2:TRAP_HANDLER: 0
; COMPUTE_PGM_RSRC2:TGID_X_EN: 1
; COMPUTE_PGM_RSRC2:TGID_Y_EN: 0
; COMPUTE_PGM_RSRC2:TGID_Z_EN: 0
; COMPUTE_PGM_RSRC2:TIDIG_COMP_CNT: 0
; COMPUTE_PGM_RSRC3_GFX90A:ACCUM_OFFSET: 28
; COMPUTE_PGM_RSRC3_GFX90A:TG_SPLIT: 0
	.text
	.p2alignl 6, 3212836864
	.fill 256, 4, 3212836864
	.type	__hip_cuid_61e48d8be2bff5f,@object ; @__hip_cuid_61e48d8be2bff5f
	.section	.bss,"aw",@nobits
	.globl	__hip_cuid_61e48d8be2bff5f
__hip_cuid_61e48d8be2bff5f:
	.byte	0                               ; 0x0
	.size	__hip_cuid_61e48d8be2bff5f, 1

	.ident	"AMD clang version 19.0.0git (https://github.com/RadeonOpenCompute/llvm-project roc-6.4.0 25133 c7fe45cf4b819c5991fe208aaa96edf142730f1d)"
	.section	".note.GNU-stack","",@progbits
	.addrsig
	.addrsig_sym __hip_cuid_61e48d8be2bff5f
	.amdgpu_metadata
---
amdhsa.kernels:
  - .agpr_count:     0
    .args:
      - .actual_access:  read_only
        .address_space:  global
        .offset:         0
        .size:           8
        .value_kind:     global_buffer
      - .offset:         8
        .size:           8
        .value_kind:     by_value
      - .actual_access:  read_only
        .address_space:  global
        .offset:         16
        .size:           8
        .value_kind:     global_buffer
      - .actual_access:  read_only
        .address_space:  global
        .offset:         24
        .size:           8
        .value_kind:     global_buffer
      - .offset:         32
        .size:           8
        .value_kind:     by_value
      - .actual_access:  read_only
        .address_space:  global
        .offset:         40
        .size:           8
        .value_kind:     global_buffer
      - .actual_access:  read_only
        .address_space:  global
        .offset:         48
        .size:           8
        .value_kind:     global_buffer
      - .offset:         56
        .size:           4
        .value_kind:     by_value
      - .actual_access:  read_only
        .address_space:  global
        .offset:         64
        .size:           8
        .value_kind:     global_buffer
      - .actual_access:  read_only
        .address_space:  global
        .offset:         72
        .size:           8
        .value_kind:     global_buffer
      - .address_space:  global
        .offset:         80
        .size:           8
        .value_kind:     global_buffer
    .group_segment_fixed_size: 0
    .kernarg_segment_align: 8
    .kernarg_segment_size: 88
    .language:       OpenCL C
    .language_version:
      - 2
      - 0
    .max_flat_workgroup_size: 128
    .name:           fft_rtc_fwd_len640_factors_8_10_8_wgs_128_tpt_64_halfLds_dp_ip_CI_sbrr_dirReg
    .private_segment_fixed_size: 0
    .sgpr_count:     30
    .sgpr_spill_count: 0
    .symbol:         fft_rtc_fwd_len640_factors_8_10_8_wgs_128_tpt_64_halfLds_dp_ip_CI_sbrr_dirReg.kd
    .uniform_work_group_size: 1
    .uses_dynamic_stack: false
    .vgpr_count:     116
    .vgpr_spill_count: 0
    .wavefront_size: 64
amdhsa.target:   amdgcn-amd-amdhsa--gfx950
amdhsa.version:
  - 1
  - 2
...

	.end_amdgpu_metadata
